;; amdgpu-corpus repo=ROCm/rocFFT kind=compiled arch=gfx906 opt=O3
	.text
	.amdgcn_target "amdgcn-amd-amdhsa--gfx906"
	.amdhsa_code_object_version 6
	.protected	fft_rtc_fwd_len847_factors_11_7_11_wgs_231_tpt_77_halfLds_sp_op_CI_CI_unitstride_sbrr_dirReg ; -- Begin function fft_rtc_fwd_len847_factors_11_7_11_wgs_231_tpt_77_halfLds_sp_op_CI_CI_unitstride_sbrr_dirReg
	.globl	fft_rtc_fwd_len847_factors_11_7_11_wgs_231_tpt_77_halfLds_sp_op_CI_CI_unitstride_sbrr_dirReg
	.p2align	8
	.type	fft_rtc_fwd_len847_factors_11_7_11_wgs_231_tpt_77_halfLds_sp_op_CI_CI_unitstride_sbrr_dirReg,@function
fft_rtc_fwd_len847_factors_11_7_11_wgs_231_tpt_77_halfLds_sp_op_CI_CI_unitstride_sbrr_dirReg: ; @fft_rtc_fwd_len847_factors_11_7_11_wgs_231_tpt_77_halfLds_sp_op_CI_CI_unitstride_sbrr_dirReg
; %bb.0:
	v_mul_u32_u24_e32 v1, 0x354, v0
	s_load_dwordx4 s[8:11], s[4:5], 0x58
	s_load_dwordx4 s[12:15], s[4:5], 0x0
	;; [unrolled: 1-line block ×3, first 2 shown]
	v_lshrrev_b32_e32 v1, 16, v1
	v_mad_u64_u32 v[19:20], s[0:1], s6, 3, v[1:2]
	v_mov_b32_e32 v3, 0
	s_waitcnt lgkmcnt(0)
	v_cmp_lt_u64_e64 s[0:1], s[14:15], 2
	v_mov_b32_e32 v8, 0
	v_mov_b32_e32 v20, v3
	;; [unrolled: 1-line block ×5, first 2 shown]
	s_and_b64 vcc, exec, s[0:1]
	v_mov_b32_e32 v2, v9
	v_mov_b32_e32 v6, v20
	s_cbranch_vccnz .LBB0_8
; %bb.1:
	s_load_dwordx2 s[0:1], s[4:5], 0x10
	s_add_u32 s2, s18, 8
	s_addc_u32 s3, s19, 0
	s_add_u32 s6, s16, 8
	s_addc_u32 s7, s17, 0
	v_mov_b32_e32 v8, 0
	s_waitcnt lgkmcnt(0)
	s_add_u32 s20, s0, 8
	v_mov_b32_e32 v9, 0
	v_mov_b32_e32 v1, v8
	;; [unrolled: 1-line block ×3, first 2 shown]
	s_addc_u32 s21, s1, 0
	s_mov_b64 s[22:23], 1
	v_mov_b32_e32 v2, v9
	v_mov_b32_e32 v11, v20
.LBB0_2:                                ; =>This Inner Loop Header: Depth=1
	s_load_dwordx2 s[24:25], s[20:21], 0x0
                                        ; implicit-def: $vgpr5_vgpr6
	s_waitcnt lgkmcnt(0)
	v_or_b32_e32 v4, s25, v11
	v_cmp_ne_u64_e32 vcc, 0, v[3:4]
	s_and_saveexec_b64 s[0:1], vcc
	s_xor_b64 s[26:27], exec, s[0:1]
	s_cbranch_execz .LBB0_4
; %bb.3:                                ;   in Loop: Header=BB0_2 Depth=1
	v_cvt_f32_u32_e32 v4, s24
	v_cvt_f32_u32_e32 v5, s25
	s_sub_u32 s0, 0, s24
	s_subb_u32 s1, 0, s25
	v_mac_f32_e32 v4, 0x4f800000, v5
	v_rcp_f32_e32 v4, v4
	v_mul_f32_e32 v4, 0x5f7ffffc, v4
	v_mul_f32_e32 v5, 0x2f800000, v4
	v_trunc_f32_e32 v5, v5
	v_mac_f32_e32 v4, 0xcf800000, v5
	v_cvt_u32_f32_e32 v5, v5
	v_cvt_u32_f32_e32 v4, v4
	v_mul_lo_u32 v6, s0, v5
	v_mul_hi_u32 v7, s0, v4
	v_mul_lo_u32 v13, s1, v4
	v_mul_lo_u32 v12, s0, v4
	v_add_u32_e32 v6, v7, v6
	v_add_u32_e32 v6, v6, v13
	v_mul_hi_u32 v7, v4, v12
	v_mul_lo_u32 v13, v4, v6
	v_mul_hi_u32 v15, v4, v6
	v_mul_hi_u32 v14, v5, v12
	v_mul_lo_u32 v12, v5, v12
	v_mul_hi_u32 v16, v5, v6
	v_add_co_u32_e32 v7, vcc, v7, v13
	v_addc_co_u32_e32 v13, vcc, 0, v15, vcc
	v_mul_lo_u32 v6, v5, v6
	v_add_co_u32_e32 v7, vcc, v7, v12
	v_addc_co_u32_e32 v7, vcc, v13, v14, vcc
	v_addc_co_u32_e32 v12, vcc, 0, v16, vcc
	v_add_co_u32_e32 v6, vcc, v7, v6
	v_addc_co_u32_e32 v7, vcc, 0, v12, vcc
	v_add_co_u32_e32 v4, vcc, v4, v6
	v_addc_co_u32_e32 v5, vcc, v5, v7, vcc
	v_mul_lo_u32 v6, s0, v5
	v_mul_hi_u32 v7, s0, v4
	v_mul_lo_u32 v12, s1, v4
	v_mul_lo_u32 v13, s0, v4
	v_add_u32_e32 v6, v7, v6
	v_add_u32_e32 v6, v6, v12
	v_mul_lo_u32 v14, v4, v6
	v_mul_hi_u32 v15, v4, v13
	v_mul_hi_u32 v16, v4, v6
	;; [unrolled: 1-line block ×3, first 2 shown]
	v_mul_lo_u32 v13, v5, v13
	v_mul_hi_u32 v7, v5, v6
	v_add_co_u32_e32 v14, vcc, v15, v14
	v_addc_co_u32_e32 v15, vcc, 0, v16, vcc
	v_mul_lo_u32 v6, v5, v6
	v_add_co_u32_e32 v13, vcc, v14, v13
	v_addc_co_u32_e32 v12, vcc, v15, v12, vcc
	v_addc_co_u32_e32 v7, vcc, 0, v7, vcc
	v_add_co_u32_e32 v6, vcc, v12, v6
	v_addc_co_u32_e32 v7, vcc, 0, v7, vcc
	v_add_co_u32_e32 v6, vcc, v4, v6
	v_addc_co_u32_e32 v7, vcc, v5, v7, vcc
	v_mad_u64_u32 v[4:5], s[0:1], v10, v7, 0
	v_mul_hi_u32 v12, v10, v6
	v_add_co_u32_e32 v12, vcc, v12, v4
	v_addc_co_u32_e32 v13, vcc, 0, v5, vcc
	v_mad_u64_u32 v[4:5], s[0:1], v11, v6, 0
	v_mad_u64_u32 v[6:7], s[0:1], v11, v7, 0
	v_add_co_u32_e32 v4, vcc, v12, v4
	v_addc_co_u32_e32 v4, vcc, v13, v5, vcc
	v_addc_co_u32_e32 v5, vcc, 0, v7, vcc
	v_add_co_u32_e32 v7, vcc, v4, v6
	v_addc_co_u32_e32 v6, vcc, 0, v5, vcc
	v_mul_lo_u32 v12, s25, v7
	v_mul_lo_u32 v13, s24, v6
	v_mad_u64_u32 v[4:5], s[0:1], s24, v7, 0
	v_add3_u32 v5, v5, v13, v12
	v_sub_u32_e32 v12, v11, v5
	v_mov_b32_e32 v13, s25
	v_sub_co_u32_e32 v4, vcc, v10, v4
	v_subb_co_u32_e64 v12, s[0:1], v12, v13, vcc
	v_subrev_co_u32_e64 v13, s[0:1], s24, v4
	v_subbrev_co_u32_e64 v12, s[0:1], 0, v12, s[0:1]
	v_cmp_le_u32_e64 s[0:1], s25, v12
	v_cndmask_b32_e64 v14, 0, -1, s[0:1]
	v_cmp_le_u32_e64 s[0:1], s24, v13
	v_cndmask_b32_e64 v13, 0, -1, s[0:1]
	v_cmp_eq_u32_e64 s[0:1], s25, v12
	v_cndmask_b32_e64 v12, v14, v13, s[0:1]
	v_add_co_u32_e64 v13, s[0:1], 2, v7
	v_addc_co_u32_e64 v14, s[0:1], 0, v6, s[0:1]
	v_add_co_u32_e64 v15, s[0:1], 1, v7
	v_addc_co_u32_e64 v16, s[0:1], 0, v6, s[0:1]
	v_subb_co_u32_e32 v5, vcc, v11, v5, vcc
	v_cmp_ne_u32_e64 s[0:1], 0, v12
	v_cmp_le_u32_e32 vcc, s25, v5
	v_cndmask_b32_e64 v12, v16, v14, s[0:1]
	v_cndmask_b32_e64 v14, 0, -1, vcc
	v_cmp_le_u32_e32 vcc, s24, v4
	v_cndmask_b32_e64 v4, 0, -1, vcc
	v_cmp_eq_u32_e32 vcc, s25, v5
	v_cndmask_b32_e32 v4, v14, v4, vcc
	v_cmp_ne_u32_e32 vcc, 0, v4
	v_cndmask_b32_e64 v4, v15, v13, s[0:1]
	v_cndmask_b32_e32 v6, v6, v12, vcc
	v_cndmask_b32_e32 v5, v7, v4, vcc
.LBB0_4:                                ;   in Loop: Header=BB0_2 Depth=1
	s_andn2_saveexec_b64 s[0:1], s[26:27]
	s_cbranch_execz .LBB0_6
; %bb.5:                                ;   in Loop: Header=BB0_2 Depth=1
	v_cvt_f32_u32_e32 v4, s24
	s_sub_i32 s26, 0, s24
	v_rcp_iflag_f32_e32 v4, v4
	v_mul_f32_e32 v4, 0x4f7ffffe, v4
	v_cvt_u32_f32_e32 v4, v4
	v_mul_lo_u32 v5, s26, v4
	v_mul_hi_u32 v5, v4, v5
	v_add_u32_e32 v4, v4, v5
	v_mul_hi_u32 v4, v10, v4
	v_mul_lo_u32 v5, v4, s24
	v_add_u32_e32 v6, 1, v4
	v_sub_u32_e32 v5, v10, v5
	v_subrev_u32_e32 v7, s24, v5
	v_cmp_le_u32_e32 vcc, s24, v5
	v_cndmask_b32_e32 v5, v5, v7, vcc
	v_cndmask_b32_e32 v4, v4, v6, vcc
	v_add_u32_e32 v6, 1, v4
	v_cmp_le_u32_e32 vcc, s24, v5
	v_cndmask_b32_e32 v5, v4, v6, vcc
	v_mov_b32_e32 v6, v3
.LBB0_6:                                ;   in Loop: Header=BB0_2 Depth=1
	s_or_b64 exec, exec, s[0:1]
	v_mul_lo_u32 v4, v6, s24
	v_mul_lo_u32 v7, v5, s25
	v_mad_u64_u32 v[12:13], s[0:1], v5, s24, 0
	s_load_dwordx2 s[0:1], s[6:7], 0x0
	s_load_dwordx2 s[24:25], s[2:3], 0x0
	v_add3_u32 v4, v13, v7, v4
	v_sub_co_u32_e32 v7, vcc, v10, v12
	v_subb_co_u32_e32 v4, vcc, v11, v4, vcc
	s_waitcnt lgkmcnt(0)
	v_mul_lo_u32 v10, s0, v4
	v_mul_lo_u32 v11, s1, v7
	v_mad_u64_u32 v[8:9], s[0:1], s0, v7, v[8:9]
	s_add_u32 s22, s22, 1
	s_addc_u32 s23, s23, 0
	s_add_u32 s2, s2, 8
	v_mul_lo_u32 v4, s24, v4
	v_mul_lo_u32 v12, s25, v7
	v_mad_u64_u32 v[1:2], s[0:1], s24, v7, v[1:2]
	v_add3_u32 v9, v11, v9, v10
	s_addc_u32 s3, s3, 0
	v_mov_b32_e32 v10, s14
	s_add_u32 s6, s6, 8
	v_mov_b32_e32 v11, s15
	s_addc_u32 s7, s7, 0
	v_cmp_ge_u64_e32 vcc, s[22:23], v[10:11]
	s_add_u32 s20, s20, 8
	v_add3_u32 v2, v12, v2, v4
	s_addc_u32 s21, s21, 0
	s_cbranch_vccnz .LBB0_8
; %bb.7:                                ;   in Loop: Header=BB0_2 Depth=1
	v_mov_b32_e32 v11, v6
	v_mov_b32_e32 v10, v5
	s_branch .LBB0_2
.LBB0_8:
	s_load_dwordx2 s[4:5], s[4:5], 0x28
	s_lshl_b64 s[6:7], s[14:15], 3
	s_add_u32 s2, s18, s6
	s_addc_u32 s3, s19, s7
                                        ; implicit-def: $sgpr14_sgpr15
                                        ; implicit-def: $vgpr7
	s_waitcnt lgkmcnt(0)
	v_cmp_gt_u64_e64 s[0:1], s[4:5], v[5:6]
	v_cmp_le_u64_e32 vcc, s[4:5], v[5:6]
	s_and_saveexec_b64 s[4:5], vcc
	s_xor_b64 s[4:5], exec, s[4:5]
; %bb.9:
	s_mov_b32 s14, 0x3531ded
	v_mul_hi_u32 v3, v0, s14
	s_mov_b64 s[14:15], 0
                                        ; implicit-def: $vgpr8_vgpr9
	v_mul_u32_u24_e32 v3, 0x4d, v3
	v_sub_u32_e32 v7, v0, v3
                                        ; implicit-def: $vgpr0
; %bb.10:
	s_or_saveexec_b64 s[4:5], s[4:5]
	v_mov_b32_e32 v3, s14
	v_mov_b32_e32 v26, s15
	;; [unrolled: 1-line block ×4, first 2 shown]
                                        ; implicit-def: $vgpr28
                                        ; implicit-def: $vgpr22
                                        ; implicit-def: $vgpr18
                                        ; implicit-def: $vgpr14
                                        ; implicit-def: $vgpr10
                                        ; implicit-def: $vgpr16
                                        ; implicit-def: $vgpr24
                                        ; implicit-def: $vgpr30
                                        ; implicit-def: $vgpr34
                                        ; implicit-def: $vgpr12
	s_xor_b64 exec, exec, s[4:5]
	s_cbranch_execz .LBB0_12
; %bb.11:
	s_add_u32 s6, s16, s6
	s_addc_u32 s7, s17, s7
	s_load_dwordx2 s[6:7], s[6:7], 0x0
	s_mov_b32 s14, 0x3531ded
	v_mul_hi_u32 v7, v0, s14
	s_waitcnt lgkmcnt(0)
	v_mul_lo_u32 v10, s7, v5
	v_mul_lo_u32 v11, s6, v6
	v_mad_u64_u32 v[3:4], s[6:7], s6, v5, 0
	v_mul_u32_u24_e32 v7, 0x4d, v7
	v_sub_u32_e32 v7, v0, v7
	v_add3_u32 v4, v4, v11, v10
	v_lshlrev_b64 v[3:4], 3, v[3:4]
	v_mov_b32_e32 v0, s9
	v_add_co_u32_e32 v10, vcc, s8, v3
	v_addc_co_u32_e32 v0, vcc, v0, v4, vcc
	v_lshlrev_b64 v[3:4], 3, v[8:9]
	s_movk_i32 s6, 0x1000
	v_add_co_u32_e32 v3, vcc, v10, v3
	v_addc_co_u32_e32 v0, vcc, v0, v4, vcc
	v_lshlrev_b32_e32 v4, 3, v7
	v_add_co_u32_e32 v3, vcc, v3, v4
	v_addc_co_u32_e32 v4, vcc, 0, v0, vcc
	v_add_co_u32_e32 v31, vcc, s6, v3
	global_load_dwordx2 v[25:26], v[3:4], off
	global_load_dwordx2 v[27:28], v[3:4], off offset:616
	global_load_dwordx2 v[21:22], v[3:4], off offset:1232
	;; [unrolled: 1-line block ×3, first 2 shown]
	v_addc_co_u32_e32 v32, vcc, 0, v4, vcc
	global_load_dwordx2 v[13:14], v[3:4], off offset:2464
	global_load_dwordx2 v[9:10], v[3:4], off offset:3080
	global_load_dwordx2 v[11:12], v[3:4], off offset:3696
	global_load_dwordx2 v[15:16], v[31:32], off offset:216
	global_load_dwordx2 v[23:24], v[31:32], off offset:832
	global_load_dwordx2 v[29:30], v[31:32], off offset:1448
	global_load_dwordx2 v[33:34], v[31:32], off offset:2064
	v_mov_b32_e32 v8, 0
	v_mov_b32_e32 v3, v7
	;; [unrolled: 1-line block ×3, first 2 shown]
.LBB0_12:
	s_or_b64 exec, exec, s[4:5]
	s_mov_b32 s4, 0xaaaaaaab
	v_mul_hi_u32 v0, v19, s4
	s_waitcnt vmcnt(0)
	v_sub_f32_e32 v20, v28, v34
	v_add_f32_e32 v8, v27, v25
	v_add_f32_e32 v8, v21, v8
	v_lshrrev_b32_e32 v0, 1, v0
	v_lshl_add_u32 v0, v0, 1, v0
	v_sub_u32_e32 v0, v19, v0
	v_add_f32_e32 v19, v27, v33
	v_mul_f32_e32 v31, 0x3f575c64, v19
	v_mul_f32_e32 v35, 0x3ed4b147, v19
	;; [unrolled: 1-line block ×5, first 2 shown]
	v_mov_b32_e32 v32, v31
	v_mov_b32_e32 v36, v35
	;; [unrolled: 1-line block ×5, first 2 shown]
	v_fmac_f32_e32 v32, 0x3f0a6770, v20
	v_fmac_f32_e32 v31, 0xbf0a6770, v20
	;; [unrolled: 1-line block ×10, first 2 shown]
	v_add_f32_e32 v20, v21, v29
	v_add_f32_e32 v32, v32, v25
	v_add_f32_e32 v31, v31, v25
	v_add_f32_e32 v36, v36, v25
	v_add_f32_e32 v35, v35, v25
	v_add_f32_e32 v38, v38, v25
	v_add_f32_e32 v37, v37, v25
	v_add_f32_e32 v40, v40, v25
	v_add_f32_e32 v39, v39, v25
	v_add_f32_e32 v41, v41, v25
	v_add_f32_e32 v19, v19, v25
	v_sub_f32_e32 v25, v22, v30
	v_mul_f32_e32 v42, 0x3ed4b147, v20
	v_mov_b32_e32 v43, v42
	v_fmac_f32_e32 v42, 0xbf68dda4, v25
	v_fmac_f32_e32 v43, 0x3f68dda4, v25
	v_add_f32_e32 v31, v42, v31
	v_mul_f32_e32 v42, 0xbf27a4f4, v20
	v_add_f32_e32 v32, v43, v32
	v_mov_b32_e32 v43, v42
	v_fmac_f32_e32 v42, 0xbf4178ce, v25
	v_fmac_f32_e32 v43, 0x3f4178ce, v25
	v_add_f32_e32 v35, v42, v35
	v_mul_f32_e32 v42, 0xbf75a155, v20
	v_add_f32_e32 v36, v43, v36
	;; [unrolled: 6-line block ×3, first 2 shown]
	v_mov_b32_e32 v43, v42
	v_fmac_f32_e32 v42, 0x3f7d64f0, v25
	v_mul_f32_e32 v20, 0x3f575c64, v20
	v_add_f32_e32 v39, v42, v39
	v_mov_b32_e32 v42, v20
	v_fmac_f32_e32 v20, 0x3f0a6770, v25
	v_fmac_f32_e32 v42, 0xbf0a6770, v25
	v_add_f32_e32 v19, v20, v19
	v_add_f32_e32 v20, v17, v23
	v_fmac_f32_e32 v43, 0xbf7d64f0, v25
	v_add_f32_e32 v41, v42, v41
	v_sub_f32_e32 v25, v18, v24
	v_mul_f32_e32 v42, 0xbe11bafb, v20
	v_add_f32_e32 v40, v43, v40
	v_mov_b32_e32 v43, v42
	v_fmac_f32_e32 v42, 0xbf7d64f0, v25
	v_fmac_f32_e32 v43, 0x3f7d64f0, v25
	v_add_f32_e32 v31, v42, v31
	v_mul_f32_e32 v42, 0xbf75a155, v20
	v_add_f32_e32 v32, v43, v32
	v_mov_b32_e32 v43, v42
	v_fmac_f32_e32 v42, 0x3e903f40, v25
	v_fmac_f32_e32 v43, 0xbe903f40, v25
	v_add_f32_e32 v35, v42, v35
	;; [unrolled: 6-line block ×3, first 2 shown]
	v_mul_f32_e32 v42, 0x3f575c64, v20
	v_add_f32_e32 v38, v43, v38
	v_mov_b32_e32 v43, v42
	v_fmac_f32_e32 v42, 0xbf0a6770, v25
	v_mul_f32_e32 v20, 0xbf27a4f4, v20
	v_add_f32_e32 v39, v42, v39
	v_mov_b32_e32 v42, v20
	v_fmac_f32_e32 v20, 0xbf4178ce, v25
	v_fmac_f32_e32 v42, 0x3f4178ce, v25
	v_add_f32_e32 v19, v20, v19
	v_add_f32_e32 v20, v13, v15
	v_fmac_f32_e32 v43, 0x3f0a6770, v25
	v_add_f32_e32 v41, v42, v41
	v_sub_f32_e32 v25, v14, v16
	v_mul_f32_e32 v42, 0xbf27a4f4, v20
	v_add_f32_e32 v40, v43, v40
	v_mov_b32_e32 v43, v42
	v_fmac_f32_e32 v42, 0xbf4178ce, v25
	v_fmac_f32_e32 v43, 0x3f4178ce, v25
	v_add_f32_e32 v31, v42, v31
	v_mul_f32_e32 v42, 0xbe11bafb, v20
	v_add_f32_e32 v32, v43, v32
	v_mov_b32_e32 v43, v42
	v_fmac_f32_e32 v42, 0x3f7d64f0, v25
	v_fmac_f32_e32 v43, 0xbf7d64f0, v25
	v_add_f32_e32 v35, v42, v35
	;; [unrolled: 6-line block ×3, first 2 shown]
	v_mul_f32_e32 v42, 0xbf75a155, v20
	v_add_f32_e32 v38, v43, v38
	v_mov_b32_e32 v43, v42
	v_fmac_f32_e32 v42, 0xbe903f40, v25
	v_mul_f32_e32 v20, 0x3ed4b147, v20
	v_add_f32_e32 v39, v42, v39
	v_mov_b32_e32 v42, v20
	v_fmac_f32_e32 v42, 0xbf68dda4, v25
	v_add_f32_e32 v41, v42, v41
	v_fmac_f32_e32 v20, 0x3f68dda4, v25
	v_add_f32_e32 v42, v9, v11
	v_fmac_f32_e32 v43, 0x3e903f40, v25
	v_add_f32_e32 v25, v20, v19
	v_mul_f32_e32 v19, 0xbf75a155, v42
	v_add_f32_e32 v40, v43, v40
	v_sub_f32_e32 v43, v10, v12
	v_mov_b32_e32 v20, v19
	v_fmac_f32_e32 v20, 0x3e903f40, v43
	v_fmac_f32_e32 v19, 0xbe903f40, v43
	v_add_f32_e32 v44, v20, v32
	v_add_f32_e32 v32, v19, v31
	v_mul_f32_e32 v19, 0x3f575c64, v42
	v_mov_b32_e32 v20, v19
	v_fmac_f32_e32 v19, 0x3f0a6770, v43
	v_fmac_f32_e32 v20, 0xbf0a6770, v43
	v_add_f32_e32 v31, v19, v35
	v_mul_f32_e32 v19, 0xbf27a4f4, v42
	v_add_f32_e32 v8, v17, v8
	v_add_f32_e32 v36, v20, v36
	v_mov_b32_e32 v20, v19
	v_add_f32_e32 v8, v13, v8
	v_fmac_f32_e32 v20, 0x3f4178ce, v43
	v_fmac_f32_e32 v19, 0xbf4178ce, v43
	v_add_f32_e32 v8, v9, v8
	v_add_f32_e32 v35, v20, v38
	;; [unrolled: 1-line block ×3, first 2 shown]
	v_mul_f32_e32 v19, 0x3ed4b147, v42
	v_add_f32_e32 v8, v11, v8
	v_mov_b32_e32 v37, v19
	v_fmac_f32_e32 v19, 0x3f68dda4, v43
	v_mul_f32_e32 v38, 0xbe11bafb, v42
	v_mul_u32_u24_e32 v0, 0x34f, v0
	v_add_f32_e32 v8, v15, v8
	v_add_f32_e32 v19, v19, v39
	v_mov_b32_e32 v39, v38
	v_fmac_f32_e32 v38, 0xbf7d64f0, v43
	v_add_f32_e32 v8, v23, v8
	v_add_f32_e32 v25, v38, v25
	v_lshl_add_u32 v38, v0, 2, 0
	v_add_f32_e32 v8, v29, v8
	v_mad_u32_u24 v45, v7, 44, v38
	s_movk_i32 s4, 0xffd8
	v_add_f32_e32 v8, v33, v8
	v_fmac_f32_e32 v37, 0xbf68dda4, v43
	v_fmac_f32_e32 v39, 0x3f7d64f0, v43
	v_mad_i32_i24 v46, v7, s4, v45
	s_load_dwordx2 s[2:3], s[2:3], 0x0
	v_add_f32_e32 v37, v37, v40
	v_add_f32_e32 v39, v39, v41
	ds_write2_b32 v45, v8, v44 offset1:1
	ds_write2_b32 v45, v36, v35 offset0:2 offset1:3
	ds_write2_b32 v45, v37, v39 offset0:4 offset1:5
	;; [unrolled: 1-line block ×4, first 2 shown]
	ds_write_b32 v45, v32 offset:40
	v_lshl_add_u32 v25, v7, 2, v38
	v_add_u32_e32 v47, 0x400, v46
	v_add_u32_e32 v48, 0x800, v46
	s_waitcnt lgkmcnt(0)
	s_barrier
	ds_read_b32 v43, v25
	ds_read2_b32 v[39:40], v46 offset0:121 offset1:242
	ds_read2_b32 v[37:38], v47 offset0:107 offset1:228
	;; [unrolled: 1-line block ×3, first 2 shown]
	s_mov_b32 s7, 0x3f575c64
	s_mov_b32 s6, 0x3ed4b147
	;; [unrolled: 1-line block ×5, first 2 shown]
	v_cmp_gt_u32_e32 vcc, 44, v7
                                        ; implicit-def: $vgpr41
                                        ; implicit-def: $vgpr44
	s_and_saveexec_b64 s[4:5], vcc
	s_cbranch_execz .LBB0_14
; %bb.13:
	ds_read2_b32 v[19:20], v46 offset0:77 offset1:198
	ds_read2_b32 v[31:32], v47 offset0:63 offset1:184
	;; [unrolled: 1-line block ×3, first 2 shown]
	ds_read_b32 v44, v46 offset:3212
.LBB0_14:
	s_or_b64 exec, exec, s[4:5]
	v_add_f32_e32 v8, v28, v26
	v_add_f32_e32 v8, v22, v8
	;; [unrolled: 1-line block ×9, first 2 shown]
	v_sub_f32_e32 v27, v27, v33
	v_add_f32_e32 v49, v34, v8
	v_add_f32_e32 v8, v28, v34
	v_mul_f32_e32 v28, 0xbf0a6770, v27
	v_mul_f32_e32 v34, 0xbf68dda4, v27
	;; [unrolled: 1-line block ×5, first 2 shown]
	v_mov_b32_e32 v33, v28
	v_mov_b32_e32 v50, v34
	;; [unrolled: 1-line block ×5, first 2 shown]
	v_fmac_f32_e32 v33, 0x3f575c64, v8
	v_fma_f32 v28, v8, s7, -v28
	v_fmac_f32_e32 v50, 0x3ed4b147, v8
	v_fma_f32 v34, v8, s6, -v34
	;; [unrolled: 2-line block ×5, first 2 shown]
	v_sub_f32_e32 v21, v21, v29
	v_add_f32_e32 v33, v33, v26
	v_add_f32_e32 v28, v28, v26
	;; [unrolled: 1-line block ×11, first 2 shown]
	v_mul_f32_e32 v26, 0xbf68dda4, v21
	v_mov_b32_e32 v27, v26
	v_fma_f32 v26, v22, s6, -v26
	v_add_f32_e32 v26, v26, v28
	v_mul_f32_e32 v28, 0xbf4178ce, v21
	v_fmac_f32_e32 v27, 0x3ed4b147, v22
	v_mov_b32_e32 v29, v28
	v_fma_f32 v28, v22, s9, -v28
	v_mul_f32_e32 v30, 0x3e903f40, v21
	v_add_f32_e32 v27, v27, v33
	v_add_f32_e32 v28, v28, v34
	v_mov_b32_e32 v33, v30
	v_fma_f32 v30, v22, s14, -v30
	v_mul_f32_e32 v34, 0x3f7d64f0, v21
	v_mul_f32_e32 v21, 0x3f0a6770, v21
	v_fmac_f32_e32 v29, 0xbf27a4f4, v22
	v_add_f32_e32 v30, v30, v51
	v_mov_b32_e32 v51, v21
	v_fma_f32 v21, v22, s7, -v21
	v_sub_f32_e32 v17, v17, v23
	v_add_f32_e32 v29, v29, v50
	v_mov_b32_e32 v50, v34
	v_add_f32_e32 v8, v21, v8
	v_add_f32_e32 v18, v18, v24
	v_mul_f32_e32 v21, 0xbf7d64f0, v17
	v_fmac_f32_e32 v33, 0xbf75a155, v22
	v_fmac_f32_e32 v50, 0xbe11bafb, v22
	v_fma_f32 v34, v22, s8, -v34
	v_fmac_f32_e32 v51, 0x3f575c64, v22
	v_mov_b32_e32 v22, v21
	v_fma_f32 v21, v18, s8, -v21
	v_mul_f32_e32 v23, 0x3e903f40, v17
	v_fmac_f32_e32 v22, 0xbe11bafb, v18
	v_add_f32_e32 v21, v21, v26
	v_mov_b32_e32 v24, v23
	v_fma_f32 v23, v18, s14, -v23
	v_mul_f32_e32 v26, 0x3f68dda4, v17
	v_add_f32_e32 v22, v22, v27
	v_add_f32_e32 v23, v23, v28
	v_mov_b32_e32 v27, v26
	v_fma_f32 v26, v18, s6, -v26
	v_mul_f32_e32 v28, 0xbf0a6770, v17
	v_mul_f32_e32 v17, 0xbf4178ce, v17
	v_sub_f32_e32 v13, v13, v15
	v_fmac_f32_e32 v24, 0xbf75a155, v18
	v_add_f32_e32 v26, v26, v30
	v_mov_b32_e32 v30, v17
	v_fma_f32 v17, v18, s9, -v17
	v_add_f32_e32 v14, v14, v16
	v_mul_f32_e32 v15, 0xbf4178ce, v13
	v_add_f32_e32 v24, v24, v29
	v_mov_b32_e32 v29, v28
	v_add_f32_e32 v8, v17, v8
	v_mov_b32_e32 v16, v15
	v_fma_f32 v15, v14, s9, -v15
	v_mul_f32_e32 v17, 0x3f7d64f0, v13
	v_fmac_f32_e32 v27, 0x3ed4b147, v18
	v_fmac_f32_e32 v29, 0x3f575c64, v18
	v_fma_f32 v28, v18, s7, -v28
	v_fmac_f32_e32 v30, 0xbf27a4f4, v18
	v_fmac_f32_e32 v16, 0xbf27a4f4, v14
	v_add_f32_e32 v15, v15, v21
	v_mov_b32_e32 v18, v17
	v_fma_f32 v17, v14, s8, -v17
	v_mul_f32_e32 v21, 0xbf0a6770, v13
	v_add_f32_e32 v16, v16, v22
	v_fmac_f32_e32 v18, 0xbe11bafb, v14
	v_add_f32_e32 v17, v17, v23
	v_mov_b32_e32 v22, v21
	v_fma_f32 v21, v14, s7, -v21
	v_mul_f32_e32 v23, 0xbe903f40, v13
	v_mul_f32_e32 v13, 0x3f68dda4, v13
	v_add_f32_e32 v18, v18, v24
	v_add_f32_e32 v21, v21, v26
	v_mov_b32_e32 v24, v23
	v_mov_b32_e32 v26, v13
	v_fmac_f32_e32 v22, 0x3f575c64, v14
	v_fmac_f32_e32 v24, 0xbf75a155, v14
	v_fma_f32 v23, v14, s14, -v23
	v_fmac_f32_e32 v26, 0x3ed4b147, v14
	v_fma_f32 v13, v14, s6, -v13
	v_sub_f32_e32 v14, v9, v11
	v_add_f32_e32 v13, v13, v8
	v_add_f32_e32 v12, v10, v12
	v_mul_f32_e32 v8, 0xbe903f40, v14
	v_mov_b32_e32 v9, v8
	v_fma_f32 v8, v12, s14, -v8
	v_fmac_f32_e32 v9, 0xbf75a155, v12
	v_add_f32_e32 v11, v8, v15
	v_mul_f32_e32 v8, 0x3f0a6770, v14
	v_add_f32_e32 v16, v9, v16
	v_mov_b32_e32 v9, v8
	v_fma_f32 v8, v12, s7, -v8
	v_add_f32_e32 v33, v33, v52
	v_fmac_f32_e32 v9, 0x3f575c64, v12
	v_add_f32_e32 v10, v8, v17
	v_mul_f32_e32 v8, 0xbf4178ce, v14
	v_add_f32_e32 v27, v27, v33
	v_add_f32_e32 v15, v9, v18
	v_mov_b32_e32 v9, v8
	v_add_f32_e32 v22, v22, v27
	v_fmac_f32_e32 v9, 0xbf27a4f4, v12
	v_fma_f32 v8, v12, s9, -v8
	v_add_f32_e32 v50, v50, v54
	v_add_f32_e32 v51, v51, v55
	;; [unrolled: 1-line block ×4, first 2 shown]
	v_mul_f32_e32 v8, 0x3f68dda4, v14
	v_mul_f32_e32 v14, 0xbf7d64f0, v14
	v_add_f32_e32 v34, v34, v53
	v_add_f32_e32 v29, v29, v50
	;; [unrolled: 1-line block ×3, first 2 shown]
	v_mov_b32_e32 v18, v8
	v_mov_b32_e32 v21, v14
	v_add_f32_e32 v28, v28, v34
	v_add_f32_e32 v24, v24, v29
	;; [unrolled: 1-line block ×3, first 2 shown]
	v_fmac_f32_e32 v18, 0x3ed4b147, v12
	v_fma_f32 v8, v12, s6, -v8
	v_fmac_f32_e32 v21, 0xbe11bafb, v12
	v_fma_f32 v12, v12, s8, -v14
	v_add_f32_e32 v23, v23, v28
	v_add_f32_e32 v18, v18, v24
	;; [unrolled: 1-line block ×5, first 2 shown]
	s_waitcnt lgkmcnt(0)
	s_barrier
	ds_write2_b32 v45, v49, v16 offset1:1
	ds_write2_b32 v45, v15, v17 offset0:2 offset1:3
	ds_write2_b32 v45, v18, v21 offset0:4 offset1:5
	;; [unrolled: 1-line block ×4, first 2 shown]
	ds_write_b32 v45, v11 offset:40
	s_waitcnt lgkmcnt(0)
	s_barrier
	ds_read_b32 v18, v25
	ds_read2_b32 v[21:22], v46 offset0:121 offset1:242
	ds_read2_b32 v[16:17], v47 offset0:107 offset1:228
	;; [unrolled: 1-line block ×3, first 2 shown]
                                        ; implicit-def: $vgpr14
                                        ; implicit-def: $vgpr49
	s_and_saveexec_b64 s[4:5], vcc
	s_cbranch_execz .LBB0_16
; %bb.15:
	v_add_u32_e32 v10, 0x400, v46
	v_add_u32_e32 v14, 0x800, v46
	ds_read2_b32 v[8:9], v46 offset0:77 offset1:198
	ds_read2_b32 v[10:11], v10 offset0:63 offset1:184
	;; [unrolled: 1-line block ×3, first 2 shown]
	ds_read_b32 v49, v46 offset:3212
.LBB0_16:
	s_or_b64 exec, exec, s[4:5]
	s_movk_i32 s4, 0x75
	v_mul_lo_u16_sdwa v23, v7, s4 dst_sel:DWORD dst_unused:UNUSED_PAD src0_sel:BYTE_0 src1_sel:DWORD
	v_sub_u16_sdwa v24, v7, v23 dst_sel:DWORD dst_unused:UNUSED_PAD src0_sel:DWORD src1_sel:BYTE_1
	v_lshrrev_b16_e32 v24, 1, v24
	v_and_b32_e32 v24, 0x7f, v24
	v_add_u16_sdwa v23, v24, v23 dst_sel:DWORD dst_unused:UNUSED_PAD src0_sel:DWORD src1_sel:BYTE_1
	v_lshrrev_b16_e32 v75, 3, v23
	v_mul_lo_u16_e32 v23, 11, v75
	v_sub_u16_e32 v76, v7, v23
	v_mov_b32_e32 v26, 6
	v_mul_u32_u24_sdwa v23, v76, v26 dst_sel:DWORD dst_unused:UNUSED_PAD src0_sel:BYTE_0 src1_sel:DWORD
	v_add_u16_e32 v27, 0x4d, v7
	v_lshlrev_b32_e32 v24, 3, v23
	v_mul_lo_u16_sdwa v23, v27, s4 dst_sel:DWORD dst_unused:UNUSED_PAD src0_sel:BYTE_0 src1_sel:DWORD
	v_sub_u16_sdwa v28, v27, v23 dst_sel:DWORD dst_unused:UNUSED_PAD src0_sel:DWORD src1_sel:BYTE_1
	v_lshrrev_b16_e32 v28, 1, v28
	v_and_b32_e32 v28, 0x7f, v28
	v_add_u16_sdwa v23, v28, v23 dst_sel:DWORD dst_unused:UNUSED_PAD src0_sel:DWORD src1_sel:BYTE_1
	v_lshrrev_b16_e32 v23, 3, v23
	v_mul_lo_u16_e32 v28, 11, v23
	global_load_dwordx4 v[51:54], v24, s[12:13] offset:16
	global_load_dwordx4 v[55:58], v24, s[12:13]
	global_load_dwordx4 v[59:62], v24, s[12:13] offset:32
	v_sub_u16_e32 v24, v27, v28
	v_mul_u32_u24_sdwa v26, v24, v26 dst_sel:DWORD dst_unused:UNUSED_PAD src0_sel:BYTE_0 src1_sel:DWORD
	v_lshlrev_b32_e32 v26, 3, v26
	global_load_dwordx4 v[63:66], v26, s[12:13]
	global_load_dwordx4 v[67:70], v26, s[12:13] offset:16
	global_load_dwordx4 v[71:74], v26, s[12:13] offset:32
	s_mov_b32 s6, 0x3f5ff5aa
	s_mov_b32 s7, 0x3f3bfb3b
	;; [unrolled: 1-line block ×4, first 2 shown]
	s_movk_i32 s14, 0x134
	s_waitcnt vmcnt(0) lgkmcnt(0)
	s_barrier
	v_mul_f32_e32 v45, v37, v52
	v_mul_f32_e32 v77, v21, v56
	;; [unrolled: 1-line block ×13, first 2 shown]
	v_fma_f32 v39, v39, v55, -v77
	v_fma_f32 v40, v40, v57, -v56
	v_fmac_f32_e32 v47, v17, v53
	v_fma_f32 v17, v35, v59, -v54
	v_fmac_f32_e32 v48, v12, v59
	v_fma_f32 v12, v36, v61, -v60
	v_mul_f32_e32 v50, v36, v62
	v_mul_f32_e32 v62, v9, v64
	;; [unrolled: 1-line block ×7, first 2 shown]
	v_fmac_f32_e32 v34, v22, v57
	v_fma_f32 v37, v37, v51, -v58
	v_fmac_f32_e32 v45, v16, v51
	v_fma_f32 v16, v38, v53, -v52
	v_fmac_f32_e32 v26, v9, v63
	v_fmac_f32_e32 v28, v11, v67
	v_add_f32_e32 v9, v39, v12
	v_add_f32_e32 v11, v40, v17
	v_mul_f32_e32 v68, v14, v70
	v_mul_f32_e32 v70, v15, v72
	v_fmac_f32_e32 v33, v21, v55
	v_fmac_f32_e32 v50, v13, v61
	;; [unrolled: 1-line block ×4, first 2 shown]
	v_sub_f32_e32 v13, v34, v48
	v_add_f32_e32 v14, v37, v16
	v_sub_f32_e32 v15, v47, v45
	v_add_f32_e32 v36, v11, v9
	v_fma_f32 v21, v31, v65, -v64
	v_fmac_f32_e32 v27, v10, v65
	v_fma_f32 v22, v32, v67, -v66
	v_fma_f32 v31, v41, v69, -v68
	v_fma_f32 v32, v42, v71, -v70
	v_sub_f32_e32 v10, v33, v50
	v_sub_f32_e32 v38, v11, v9
	;; [unrolled: 1-line block ×4, first 2 shown]
	v_add_f32_e32 v41, v15, v13
	v_sub_f32_e32 v42, v15, v13
	v_add_f32_e32 v14, v14, v36
	v_mul_f32_e32 v72, v49, v74
	v_sub_f32_e32 v15, v10, v15
	v_sub_f32_e32 v13, v13, v10
	v_add_f32_e32 v10, v41, v10
	v_mul_f32_e32 v41, 0xbf08b237, v42
	v_add_f32_e32 v42, v43, v14
	v_mul_f32_e32 v46, v44, v74
	v_fma_f32 v35, v44, v73, -v72
	v_mul_f32_e32 v9, 0x3f4a47b2, v9
	v_mul_f32_e32 v36, 0x3d64c772, v11
	v_mov_b32_e32 v44, v42
	v_mul_f32_e32 v43, 0x3f5ff5aa, v13
	v_fmac_f32_e32 v44, 0xbf955555, v14
	v_fma_f32 v14, v38, s7, -v36
	v_fma_f32 v36, v38, s8, -v9
	v_fmac_f32_e32 v9, 0x3d64c772, v11
	v_fma_f32 v11, v13, s6, -v41
	v_fmac_f32_e32 v41, 0x3eae86e6, v15
	v_fma_f32 v13, v15, s9, -v43
	v_add_f32_e32 v9, v9, v44
	v_add_f32_e32 v14, v14, v44
	v_fmac_f32_e32 v41, 0x3ee1c552, v10
	v_fmac_f32_e32 v11, 0x3ee1c552, v10
	v_add_f32_e32 v15, v36, v44
	v_fmac_f32_e32 v13, 0x3ee1c552, v10
	v_add_f32_e32 v10, v41, v9
	v_sub_f32_e32 v44, v14, v11
	v_add_f32_e32 v11, v11, v14
	v_sub_f32_e32 v14, v9, v41
	v_mov_b32_e32 v9, 2
	v_add_f32_e32 v43, v13, v15
	v_sub_f32_e32 v13, v15, v13
	v_mad_u32_u24 v15, v75, s14, 0
	v_lshlrev_b32_sdwa v38, v9, v76 dst_sel:DWORD dst_unused:UNUSED_PAD src0_sel:DWORD src1_sel:BYTE_0
	v_lshlrev_b32_e32 v36, 2, v0
	v_fma_f32 v20, v20, v63, -v62
	v_fmac_f32_e32 v46, v49, v73
	v_add3_u32 v38, v15, v38, v36
	ds_write2_b32 v38, v42, v10 offset1:11
	ds_write2_b32 v38, v43, v44 offset0:22 offset1:33
	ds_write2_b32 v38, v11, v13 offset0:44 offset1:55
	ds_write_b32 v38, v14 offset:264
	s_and_saveexec_b64 s[4:5], vcc
	s_cbranch_execz .LBB0_18
; %bb.17:
	v_add_f32_e32 v0, v20, v35
	v_add_f32_e32 v10, v22, v31
	v_sub_f32_e32 v11, v0, v10
	v_mul_f32_e32 v11, 0x3f4a47b2, v11
	v_add_f32_e32 v13, v21, v32
	v_sub_f32_e32 v14, v10, v13
	v_mov_b32_e32 v41, v11
	v_mul_f32_e32 v15, 0x3d64c772, v14
	v_fmac_f32_e32 v41, 0x3d64c772, v14
	v_add_f32_e32 v14, v13, v0
	v_add_f32_e32 v10, v10, v14
	;; [unrolled: 1-line block ×3, first 2 shown]
	v_mov_b32_e32 v19, v14
	v_fmac_f32_e32 v19, 0xbf955555, v10
	v_sub_f32_e32 v42, v29, v28
	v_sub_f32_e32 v44, v27, v30
	v_add_f32_e32 v10, v41, v19
	v_sub_f32_e32 v41, v26, v46
	v_sub_f32_e32 v49, v42, v44
	;; [unrolled: 1-line block ×3, first 2 shown]
	v_mul_f32_e32 v49, 0xbf08b237, v49
	v_add_f32_e32 v42, v42, v44
	v_sub_f32_e32 v0, v13, v0
	v_sub_f32_e32 v13, v44, v41
	v_mov_b32_e32 v51, v49
	v_add_f32_e32 v42, v42, v41
	v_fma_f32 v11, v0, s8, -v11
	v_mul_f32_e32 v41, 0x3f5ff5aa, v13
	v_fma_f32 v13, v13, s6, -v49
	v_fma_f32 v0, v0, s7, -v15
	v_fmac_f32_e32 v51, 0x3eae86e6, v43
	v_fmac_f32_e32 v13, 0x3ee1c552, v42
	v_add_f32_e32 v0, v0, v19
	v_fmac_f32_e32 v51, 0x3ee1c552, v42
	v_fma_f32 v41, v43, s9, -v41
	v_add_f32_e32 v15, v13, v0
	v_sub_f32_e32 v0, v0, v13
	v_mad_u32_u24 v13, v23, s14, 0
	v_lshlrev_b32_sdwa v9, v9, v24 dst_sel:DWORD dst_unused:UNUSED_PAD src0_sel:DWORD src1_sel:BYTE_0
	v_sub_f32_e32 v52, v10, v51
	v_add_f32_e32 v11, v11, v19
	v_fmac_f32_e32 v41, 0x3ee1c552, v42
	v_add_f32_e32 v10, v51, v10
	v_add3_u32 v9, v13, v9, v36
	v_sub_f32_e32 v43, v11, v41
	v_add_f32_e32 v11, v41, v11
	ds_write2_b32 v9, v14, v10 offset1:11
	ds_write2_b32 v9, v11, v0 offset0:22 offset1:33
	ds_write2_b32 v9, v15, v43 offset0:44 offset1:55
	ds_write_b32 v9, v52 offset:264
.LBB0_18:
	s_or_b64 exec, exec, s[4:5]
	v_add_f32_e32 v0, v33, v50
	v_add_f32_e32 v10, v34, v48
	v_sub_f32_e32 v9, v39, v12
	v_add_f32_e32 v12, v45, v47
	v_add_f32_e32 v14, v10, v0
	v_sub_f32_e32 v11, v40, v17
	v_sub_f32_e32 v13, v16, v37
	v_sub_f32_e32 v15, v10, v0
	v_sub_f32_e32 v0, v0, v12
	v_sub_f32_e32 v10, v12, v10
	v_add_f32_e32 v12, v12, v14
	v_add_f32_e32 v16, v13, v11
	v_sub_f32_e32 v17, v13, v11
	v_sub_f32_e32 v11, v11, v9
	v_add_f32_e32 v33, v18, v12
	v_sub_f32_e32 v13, v9, v13
	v_add_f32_e32 v9, v16, v9
	v_mul_f32_e32 v0, 0x3f4a47b2, v0
	v_mul_f32_e32 v14, 0x3d64c772, v10
	;; [unrolled: 1-line block ×4, first 2 shown]
	v_mov_b32_e32 v18, v33
	v_fmac_f32_e32 v18, 0xbf955555, v12
	v_fma_f32 v12, v15, s7, -v14
	v_fma_f32 v14, v15, s8, -v0
	v_fmac_f32_e32 v0, 0x3d64c772, v10
	v_fma_f32 v10, v11, s6, -v16
	v_fmac_f32_e32 v16, 0x3eae86e6, v13
	;; [unrolled: 2-line block ×3, first 2 shown]
	v_fmac_f32_e32 v10, 0x3ee1c552, v9
	v_fmac_f32_e32 v11, 0x3ee1c552, v9
	v_lshlrev_b32_e32 v9, 2, v7
	v_add3_u32 v19, 0, v9, v36
	v_add_f32_e32 v12, v12, v18
	v_add_f32_e32 v13, v14, v18
	v_add_u32_e32 v9, 0x200, v19
	v_add_f32_e32 v0, v0, v18
	v_sub_f32_e32 v37, v13, v11
	v_add_f32_e32 v39, v10, v12
	v_sub_f32_e32 v40, v12, v10
	v_add_f32_e32 v41, v11, v13
	s_waitcnt lgkmcnt(0)
	s_barrier
	ds_read2_b32 v[11:12], v9 offset0:103 offset1:180
	v_add_u32_e32 v9, 0x400, v19
	v_add_u32_e32 v13, 0x800, v19
	;; [unrolled: 1-line block ×3, first 2 shown]
	v_sub_f32_e32 v34, v0, v16
	v_add_f32_e32 v42, v16, v0
	ds_read_b32 v0, v25
	ds_read2_b32 v[15:16], v19 offset0:77 offset1:154
	ds_read2_b32 v[9:10], v9 offset0:129 offset1:206
	;; [unrolled: 1-line block ×4, first 2 shown]
	s_waitcnt lgkmcnt(0)
	s_barrier
	ds_write2_b32 v38, v33, v34 offset1:11
	ds_write2_b32 v38, v37, v39 offset0:22 offset1:33
	ds_write2_b32 v38, v40, v41 offset0:44 offset1:55
	ds_write_b32 v38, v42 offset:264
	s_and_saveexec_b64 s[4:5], vcc
	s_cbranch_execz .LBB0_20
; %bb.19:
	v_add_f32_e32 v26, v26, v46
	v_add_f32_e32 v27, v27, v30
	;; [unrolled: 1-line block ×4, first 2 shown]
	v_sub_f32_e32 v21, v21, v32
	v_sub_f32_e32 v22, v31, v22
	;; [unrolled: 1-line block ×5, first 2 shown]
	v_add_f32_e32 v28, v28, v29
	v_sub_f32_e32 v20, v20, v35
	v_add_f32_e32 v31, v22, v21
	v_sub_f32_e32 v32, v22, v21
	;; [unrolled: 2-line block ×3, first 2 shown]
	v_sub_f32_e32 v21, v21, v20
	v_add_f32_e32 v20, v31, v20
	v_mul_f32_e32 v29, 0x3d64c772, v27
	v_mul_f32_e32 v31, 0xbf08b237, v32
	v_mov_b32_e32 v33, v8
	v_mul_f32_e32 v26, 0x3f4a47b2, v26
	v_mul_f32_e32 v32, 0x3f5ff5aa, v21
	v_fmac_f32_e32 v33, 0xbf955555, v28
	v_fma_f32 v28, v30, s7, -v29
	s_mov_b32 s7, 0xbf3bfb3b
	v_fma_f32 v21, v21, s6, -v31
	v_fma_f32 v29, v30, s7, -v26
	v_fmac_f32_e32 v26, 0x3d64c772, v27
	s_mov_b32 s6, 0xbeae86e6
	v_add_f32_e32 v27, v28, v33
	v_fmac_f32_e32 v21, 0x3ee1c552, v20
	v_fmac_f32_e32 v31, 0x3eae86e6, v22
	v_fma_f32 v22, v22, s6, -v32
	v_add_f32_e32 v30, v21, v27
	v_sub_f32_e32 v21, v27, v21
	s_movk_i32 s6, 0x134
	v_mov_b32_e32 v27, 2
	v_add_f32_e32 v26, v26, v33
	v_fmac_f32_e32 v31, 0x3ee1c552, v20
	v_mad_u32_u24 v23, v23, s6, 0
	v_lshlrev_b32_sdwa v24, v27, v24 dst_sel:DWORD dst_unused:UNUSED_PAD src0_sel:DWORD src1_sel:BYTE_0
	v_add_f32_e32 v28, v29, v33
	v_fmac_f32_e32 v22, 0x3ee1c552, v20
	v_sub_f32_e32 v20, v26, v31
	v_add3_u32 v23, v23, v24, v36
	v_sub_f32_e32 v29, v28, v22
	v_add_f32_e32 v22, v22, v28
	v_add_f32_e32 v26, v31, v26
	ds_write2_b32 v23, v8, v20 offset1:11
	ds_write2_b32 v23, v29, v30 offset0:22 offset1:33
	ds_write2_b32 v23, v21, v22 offset0:44 offset1:55
	ds_write_b32 v23, v26 offset:264
.LBB0_20:
	s_or_b64 exec, exec, s[4:5]
	s_waitcnt lgkmcnt(0)
	s_barrier
	s_and_saveexec_b64 s[4:5], s[0:1]
	s_cbranch_execz .LBB0_22
; %bb.21:
	v_mul_u32_u24_e32 v7, 10, v7
	v_lshlrev_b32_e32 v7, 3, v7
	global_load_dwordx4 v[20:23], v7, s[12:13] offset:592
	global_load_dwordx4 v[26:29], v7, s[12:13] offset:528
	;; [unrolled: 1-line block ×5, first 2 shown]
	v_mul_lo_u32 v48, s3, v5
	v_mul_lo_u32 v49, s2, v6
	v_mad_u64_u32 v[5:6], s[0:1], s2, v5, 0
	v_add_u32_e32 v24, 0xa00, v19
	v_add_u32_e32 v42, 0x800, v19
	v_add_u32_e32 v44, 0x200, v19
	ds_read2_b32 v[7:8], v19 offset0:77 offset1:154
	ds_read_b32 v50, v25
	v_add_u32_e32 v19, 0x400, v19
	ds_read2_b32 v[24:25], v24 offset0:53 offset1:130
	ds_read2_b32 v[42:43], v42 offset0:27 offset1:104
	;; [unrolled: 1-line block ×4, first 2 shown]
	v_add3_u32 v6, v6, v49, v48
	s_mov_b32 s3, 0x3ed4b147
	s_mov_b32 s2, 0xbf27a4f4
	s_mov_b32 s0, 0xbf75a155
	s_mov_b32 s4, 0xbe11bafb
	s_mov_b32 s1, 0x3f575c64
	v_lshlrev_b64 v[5:6], 3, v[5:6]
	v_add_co_u32_e32 v5, vcc, s10, v5
	s_waitcnt vmcnt(4)
	v_mul_f32_e32 v48, v18, v23
	s_waitcnt vmcnt(3)
	v_mul_f32_e32 v49, v15, v27
	s_waitcnt lgkmcnt(5)
	v_mul_f32_e32 v19, v7, v27
	v_mul_f32_e32 v27, v17, v21
	;; [unrolled: 1-line block ×3, first 2 shown]
	s_waitcnt vmcnt(1)
	v_mul_f32_e32 v53, v11, v35
	s_waitcnt lgkmcnt(1)
	v_mul_f32_e32 v35, v44, v35
	v_fmac_f32_e32 v49, v7, v26
	v_fmac_f32_e32 v48, v25, v22
	v_mul_f32_e32 v23, v25, v23
	v_mul_f32_e32 v21, v24, v21
	;; [unrolled: 1-line block ×3, first 2 shown]
	v_fmac_f32_e32 v51, v8, v28
	v_fmac_f32_e32 v27, v24, v20
	v_fmac_f32_e32 v53, v44, v34
	v_fma_f32 v24, v11, v34, -v35
	v_add_f32_e32 v34, v48, v49
	v_mul_f32_e32 v29, v8, v29
	v_mul_f32_e32 v33, v43, v33
	;; [unrolled: 1-line block ×5, first 2 shown]
	v_fma_f32 v26, v15, v26, -v19
	v_fma_f32 v23, v18, v22, -v23
	v_fmac_f32_e32 v52, v43, v32
	v_add_f32_e32 v35, v27, v51
	v_mul_f32_e32 v19, 0x3ed4b147, v34
	v_mul_f32_e32 v31, v42, v31
	s_waitcnt vmcnt(0)
	v_mul_f32_e32 v56, v10, v41
	v_mul_f32_e32 v57, v9, v39
	s_waitcnt lgkmcnt(0)
	v_mul_f32_e32 v39, v46, v39
	v_fma_f32 v28, v16, v28, -v29
	v_fma_f32 v25, v17, v20, -v21
	;; [unrolled: 1-line block ×3, first 2 shown]
	v_fmac_f32_e32 v54, v42, v30
	v_fmac_f32_e32 v55, v45, v36
	v_fma_f32 v32, v12, v36, -v37
	v_sub_f32_e32 v21, v26, v23
	v_add_f32_e32 v36, v52, v53
	v_mul_f32_e32 v20, 0xbf27a4f4, v35
	v_mov_b32_e32 v7, v19
	v_mul_f32_e32 v41, v47, v41
	v_fma_f32 v30, v13, v30, -v31
	v_fmac_f32_e32 v56, v47, v40
	v_fmac_f32_e32 v57, v46, v38
	v_fma_f32 v31, v9, v38, -v39
	v_sub_f32_e32 v22, v28, v25
	v_add_f32_e32 v38, v54, v55
	v_mul_f32_e32 v43, 0xbf75a155, v36
	v_mov_b32_e32 v8, v20
	v_fmac_f32_e32 v7, 0x3f68dda4, v21
	v_fma_f32 v33, v10, v40, -v41
	v_sub_f32_e32 v37, v24, v29
	v_add_f32_e32 v40, v56, v57
	v_mul_f32_e32 v44, 0xbe11bafb, v38
	v_mov_b32_e32 v9, v43
	v_fmac_f32_e32 v8, 0x3f4178ce, v22
	v_add_f32_e32 v7, v50, v7
	v_sub_f32_e32 v39, v32, v30
	v_mul_f32_e32 v45, 0x3f575c64, v40
	v_mov_b32_e32 v10, v44
	v_fmac_f32_e32 v9, 0xbe903f40, v37
	v_add_f32_e32 v7, v7, v8
	v_sub_f32_e32 v41, v31, v33
	v_mov_b32_e32 v11, v45
	v_fmac_f32_e32 v10, 0xbf7d64f0, v39
	v_add_f32_e32 v7, v7, v9
	v_sub_f32_e32 v46, v49, v48
	v_fmac_f32_e32 v11, 0xbf0a6770, v41
	v_add_f32_e32 v7, v7, v10
	v_mul_f32_e32 v47, 0xbf68dda4, v46
	v_sub_f32_e32 v59, v51, v27
	v_add_f32_e32 v42, v23, v26
	v_add_f32_e32 v8, v7, v11
	v_mov_b32_e32 v7, v47
	v_mul_f32_e32 v60, 0xbf4178ce, v59
	v_fmac_f32_e32 v7, 0x3ed4b147, v42
	v_add_f32_e32 v58, v25, v28
	v_mov_b32_e32 v9, v60
	v_sub_f32_e32 v62, v53, v52
	v_add_f32_e32 v7, v0, v7
	v_fmac_f32_e32 v9, 0xbf27a4f4, v58
	v_mul_f32_e32 v63, 0x3e903f40, v62
	v_add_f32_e32 v7, v7, v9
	v_add_f32_e32 v61, v29, v24
	v_mov_b32_e32 v9, v63
	v_sub_f32_e32 v65, v55, v54
	v_fmac_f32_e32 v9, 0xbf75a155, v61
	v_mul_f32_e32 v66, 0x3f7d64f0, v65
	v_add_f32_e32 v7, v7, v9
	v_add_f32_e32 v64, v30, v32
	v_mov_b32_e32 v9, v66
	v_sub_f32_e32 v68, v57, v56
	v_fmac_f32_e32 v9, 0xbe11bafb, v64
	v_mul_f32_e32 v69, 0x3f0a6770, v68
	v_add_f32_e32 v7, v7, v9
	v_add_f32_e32 v67, v33, v31
	v_mov_b32_e32 v9, v69
	v_fmac_f32_e32 v9, 0x3f575c64, v67
	v_mul_f32_e32 v17, 0xbe11bafb, v34
	v_add_f32_e32 v7, v7, v9
	v_mov_b32_e32 v9, v17
	v_mul_f32_e32 v18, 0xbf75a155, v35
	v_fmac_f32_e32 v9, 0x3f7d64f0, v21
	v_mov_b32_e32 v10, v18
	v_add_f32_e32 v9, v50, v9
	v_fmac_f32_e32 v10, 0xbe903f40, v22
	v_mul_f32_e32 v70, 0x3ed4b147, v36
	v_add_f32_e32 v9, v9, v10
	v_mov_b32_e32 v10, v70
	v_fmac_f32_e32 v10, 0xbf68dda4, v37
	v_mul_f32_e32 v71, 0x3f575c64, v38
	v_add_f32_e32 v9, v9, v10
	v_mov_b32_e32 v10, v71
	;; [unrolled: 4-line block ×3, first 2 shown]
	v_mul_f32_e32 v73, 0x3e903f40, v59
	v_fmac_f32_e32 v10, 0xbe11bafb, v42
	v_mov_b32_e32 v11, v73
	v_add_f32_e32 v10, v0, v10
	v_fmac_f32_e32 v11, 0xbf75a155, v58
	v_mul_f32_e32 v74, 0x3f68dda4, v62
	v_add_f32_e32 v10, v10, v11
	v_mov_b32_e32 v11, v74
	v_fmac_f32_e32 v11, 0x3ed4b147, v61
	v_mul_f32_e32 v75, 0xbf0a6770, v65
	v_add_f32_e32 v10, v10, v11
	v_mov_b32_e32 v11, v75
	;; [unrolled: 4-line block ×5, first 2 shown]
	v_mul_f32_e32 v16, 0xbe11bafb, v35
	v_fmac_f32_e32 v11, 0x3f4178ce, v21
	v_mov_b32_e32 v12, v16
	v_add_f32_e32 v11, v50, v11
	v_fmac_f32_e32 v12, 0xbf7d64f0, v22
	v_mul_f32_e32 v78, 0x3f575c64, v36
	v_add_f32_e32 v11, v11, v12
	v_mov_b32_e32 v12, v78
	v_fmac_f32_e32 v12, 0x3f0a6770, v37
	v_mul_f32_e32 v79, 0xbf75a155, v38
	v_add_f32_e32 v11, v11, v12
	v_mov_b32_e32 v12, v79
	v_fmac_f32_e32 v12, 0x3e903f40, v39
	v_mul_f32_e32 v80, 0xbf4178ce, v46
	v_fmac_f32_e32 v19, 0xbf68dda4, v21
	v_add_f32_e32 v11, v11, v12
	v_mov_b32_e32 v12, v80
	v_mul_f32_e32 v81, 0x3f7d64f0, v59
	v_add_f32_e32 v19, v50, v19
	v_fmac_f32_e32 v20, 0xbf4178ce, v22
	v_fmac_f32_e32 v12, 0xbf27a4f4, v42
	v_mov_b32_e32 v13, v81
	v_add_f32_e32 v19, v19, v20
	v_fmac_f32_e32 v43, 0x3e903f40, v37
	v_fma_f32 v20, v42, s3, -v47
	v_add_f32_e32 v12, v0, v12
	v_fmac_f32_e32 v13, 0xbe11bafb, v58
	v_mul_f32_e32 v82, 0xbf0a6770, v62
	v_add_f32_e32 v19, v19, v43
	v_add_f32_e32 v20, v0, v20
	v_fma_f32 v43, v58, s2, -v60
	v_add_f32_e32 v12, v12, v13
	v_mov_b32_e32 v13, v82
	v_fmac_f32_e32 v44, 0x3f7d64f0, v39
	v_add_f32_e32 v20, v20, v43
	v_fma_f32 v43, v61, s0, -v63
	v_fmac_f32_e32 v13, 0x3f575c64, v61
	v_mul_f32_e32 v83, 0xbe903f40, v65
	v_add_f32_e32 v19, v19, v44
	v_add_f32_e32 v20, v20, v43
	v_fma_f32 v43, v64, s4, -v66
	v_fmac_f32_e32 v45, 0x3f0a6770, v41
	v_add_f32_e32 v12, v12, v13
	v_mov_b32_e32 v13, v83
	v_add_f32_e32 v43, v20, v43
	v_add_f32_e32 v20, v19, v45
	v_fma_f32 v19, v67, s1, -v69
	v_add_f32_e32 v26, v0, v26
	v_fmac_f32_e32 v13, 0xbf75a155, v64
	v_mul_f32_e32 v84, 0x3ed4b147, v40
	v_add_f32_e32 v19, v43, v19
	v_mul_f32_e32 v43, 0xbf0a6770, v21
	v_add_f32_e32 v26, v26, v28
	v_add_f32_e32 v13, v12, v13
	v_mov_b32_e32 v12, v84
	v_mul_f32_e32 v86, 0xbe903f40, v21
	v_fmac_f32_e32 v15, 0xbf4178ce, v21
	v_fmac_f32_e32 v17, 0xbf7d64f0, v21
	v_mov_b32_e32 v21, v43
	v_mul_f32_e32 v44, 0xbf68dda4, v22
	v_add_f32_e32 v24, v26, v24
	v_fmac_f32_e32 v12, 0xbf68dda4, v41
	v_mul_f32_e32 v85, 0x3f68dda4, v68
	v_mul_f32_e32 v87, 0x3f0a6770, v22
	v_fmac_f32_e32 v16, 0x3f7d64f0, v22
	v_fmac_f32_e32 v18, 0x3e903f40, v22
	;; [unrolled: 1-line block ×3, first 2 shown]
	v_mov_b32_e32 v22, v44
	v_add_f32_e32 v24, v24, v32
	v_add_f32_e32 v12, v11, v12
	v_mov_b32_e32 v11, v85
	v_mul_f32_e32 v88, 0xbf4178ce, v37
	v_fmac_f32_e32 v78, 0xbf0a6770, v37
	v_fmac_f32_e32 v70, 0x3f68dda4, v37
	v_add_f32_e32 v21, v50, v21
	v_fmac_f32_e32 v22, 0x3ed4b147, v35
	v_mul_f32_e32 v37, 0xbf7d64f0, v37
	v_add_f32_e32 v49, v50, v49
	v_add_f32_e32 v24, v24, v31
	v_fmac_f32_e32 v11, 0x3ed4b147, v67
	v_add_f32_e32 v21, v21, v22
	v_mov_b32_e32 v22, v37
	v_add_f32_e32 v49, v49, v51
	v_add_f32_e32 v24, v33, v24
	;; [unrolled: 1-line block ×3, first 2 shown]
	v_mov_b32_e32 v13, v86
	v_mul_f32_e32 v89, 0x3f68dda4, v39
	v_fmac_f32_e32 v79, 0xbe903f40, v39
	v_fmac_f32_e32 v71, 0xbf0a6770, v39
	;; [unrolled: 1-line block ×3, first 2 shown]
	v_mul_f32_e32 v39, 0xbf4178ce, v39
	v_add_f32_e32 v49, v49, v53
	v_add_f32_e32 v26, v30, v24
	v_fmac_f32_e32 v13, 0xbf75a155, v34
	v_mov_b32_e32 v14, v87
	v_add_f32_e32 v21, v21, v22
	v_mov_b32_e32 v22, v39
	v_add_f32_e32 v49, v49, v55
	v_add_f32_e32 v26, v29, v26
	;; [unrolled: 1-line block ×3, first 2 shown]
	v_fmac_f32_e32 v14, 0x3f575c64, v35
	v_fmac_f32_e32 v22, 0xbf27a4f4, v38
	v_mul_f32_e32 v45, 0xbf0a6770, v46
	v_add_f32_e32 v49, v49, v57
	v_add_f32_e32 v25, v25, v26
	;; [unrolled: 1-line block ×3, first 2 shown]
	v_mov_b32_e32 v14, v88
	v_mul_f32_e32 v90, 0xbe903f40, v46
	v_add_f32_e32 v21, v21, v22
	v_fma_f32 v22, v42, s1, -v45
	v_mul_f32_e32 v46, 0xbf68dda4, v59
	v_add_f32_e32 v49, v56, v49
	v_add_f32_e32 v23, v23, v25
	v_fma_f32 v25, v34, s0, -v86
	v_fmac_f32_e32 v14, 0xbf27a4f4, v36
	v_add_f32_e32 v22, v0, v22
	v_fma_f32 v47, v58, s3, -v46
	v_add_f32_e32 v49, v54, v49
	v_add_f32_e32 v25, v50, v25
	v_fma_f32 v26, v35, s1, -v87
	v_add_f32_e32 v13, v13, v14
	v_mov_b32_e32 v14, v89
	v_add_f32_e32 v22, v22, v47
	v_mul_f32_e32 v47, 0xbf7d64f0, v62
	v_add_f32_e32 v49, v52, v49
	v_add_f32_e32 v25, v25, v26
	v_fma_f32 v26, v36, s2, -v88
	v_fmac_f32_e32 v14, 0x3ed4b147, v38
	v_mul_f32_e32 v91, 0x3f0a6770, v59
	v_mul_f32_e32 v95, 0xbf7d64f0, v41
	v_add_f32_e32 v15, v50, v15
	v_add_f32_e32 v17, v50, v17
	v_fma_f32 v59, v61, s4, -v47
	v_add_f32_e32 v27, v27, v49
	v_add_f32_e32 v25, v25, v26
	v_fma_f32 v26, v38, s3, -v89
	v_add_f32_e32 v13, v13, v14
	v_fma_f32 v14, v42, s0, -v90
	;; [unrolled: 2-line block ×4, first 2 shown]
	v_add_f32_e32 v22, v22, v59
	v_mul_f32_e32 v59, 0xbf4178ce, v65
	v_add_f32_e32 v24, v48, v27
	v_add_f32_e32 v25, v25, v26
	v_fma_f32 v26, v40, s4, -v95
	v_fmac_f32_e32 v90, 0xbf75a155, v42
	v_fma_f32 v27, v34, s1, -v43
	v_fmac_f32_e32 v45, 0x3f575c64, v42
	v_add_f32_e32 v14, v0, v14
	v_add_f32_e32 v16, v0, v16
	v_fmac_f32_e32 v84, 0x3f68dda4, v41
	v_add_f32_e32 v18, v0, v18
	v_fmac_f32_e32 v76, 0xbf4178ce, v41
	v_fma_f32 v60, v64, s2, -v59
	v_mul_f32_e32 v41, 0xbe903f40, v41
	v_add_f32_e32 v26, v25, v26
	v_add_f32_e32 v25, v0, v90
	;; [unrolled: 1-line block ×3, first 2 shown]
	v_fma_f32 v28, v35, s3, -v44
	v_add_f32_e32 v0, v0, v45
	v_fmac_f32_e32 v46, 0x3ed4b147, v58
	v_fma_f32 v92, v58, s1, -v91
	v_add_f32_e32 v60, v22, v60
	v_mov_b32_e32 v22, v41
	v_add_f32_e32 v27, v27, v28
	v_fma_f32 v28, v36, s4, -v37
	v_add_f32_e32 v0, v0, v46
	v_fmac_f32_e32 v47, 0xbe11bafb, v61
	v_add_f32_e32 v14, v14, v92
	v_mul_f32_e32 v92, 0xbf4178ce, v62
	v_fmac_f32_e32 v22, 0xbf75a155, v40
	v_mul_f32_e32 v62, 0xbe903f40, v68
	v_add_f32_e32 v27, v27, v28
	v_fma_f32 v28, v38, s2, -v39
	v_add_f32_e32 v0, v0, v47
	v_fmac_f32_e32 v59, 0xbf27a4f4, v64
	v_add_f32_e32 v22, v21, v22
	v_fma_f32 v21, v67, s0, -v62
	v_add_f32_e32 v27, v27, v28
	v_fma_f32 v28, v40, s0, -v41
	v_add_f32_e32 v0, v0, v59
	v_fmac_f32_e32 v62, 0xbf75a155, v67
	v_add_f32_e32 v28, v27, v28
	v_add_f32_e32 v27, v0, v62
	v_mov_b32_e32 v0, s11
	v_addc_co_u32_e32 v6, vcc, v0, v6, vcc
	v_lshlrev_b64 v[0:1], 3, v[1:2]
	v_fma_f32 v93, v61, s2, -v92
	v_add_f32_e32 v14, v14, v93
	v_mul_f32_e32 v93, 0x3f68dda4, v65
	v_add_co_u32_e32 v2, vcc, v5, v0
	v_fma_f32 v94, v64, s3, -v93
	v_add_f32_e32 v15, v15, v78
	v_fma_f32 v78, v58, s4, -v81
	v_add_f32_e32 v17, v17, v70
	v_fma_f32 v70, v58, s0, -v73
	v_fmac_f32_e32 v91, 0x3f575c64, v58
	v_addc_co_u32_e32 v5, vcc, v6, v1, vcc
	v_lshlrev_b64 v[0:1], 3, v[3:4]
	v_add_f32_e32 v94, v14, v94
	v_mov_b32_e32 v14, v95
	v_add_f32_e32 v16, v16, v78
	v_fma_f32 v78, v61, s1, -v82
	v_add_f32_e32 v18, v18, v70
	v_fma_f32 v70, v61, s3, -v74
	v_add_f32_e32 v25, v25, v91
	v_fmac_f32_e32 v92, 0xbf27a4f4, v61
	v_fmac_f32_e32 v14, 0xbe11bafb, v40
	v_mul_f32_e32 v96, 0xbf7d64f0, v68
	v_add_f32_e32 v15, v15, v79
	v_add_f32_e32 v16, v16, v78
	v_fma_f32 v78, v64, s0, -v83
	v_add_f32_e32 v17, v17, v71
	v_add_f32_e32 v18, v18, v70
	v_fma_f32 v70, v64, s1, -v75
	v_add_f32_e32 v25, v25, v92
	v_fmac_f32_e32 v93, 0x3ed4b147, v64
	v_add_co_u32_e32 v0, vcc, v2, v0
	v_add_f32_e32 v14, v13, v14
	v_fma_f32 v13, v67, s4, -v96
	v_add_f32_e32 v78, v16, v78
	v_add_f32_e32 v16, v15, v84
	v_fma_f32 v15, v67, s3, -v85
	v_add_f32_e32 v70, v18, v70
	;; [unrolled: 3-line block ×3, first 2 shown]
	v_fmac_f32_e32 v96, 0xbe11bafb, v67
	v_addc_co_u32_e32 v1, vcc, v5, v1, vcc
	v_add_f32_e32 v13, v94, v13
	v_add_f32_e32 v15, v78, v15
	;; [unrolled: 1-line block ×5, first 2 shown]
	global_store_dwordx2 v[0:1], v[23:24], off
	global_store_dwordx2 v[0:1], v[21:22], off offset:616
	global_store_dwordx2 v[0:1], v[19:20], off offset:1232
	;; [unrolled: 1-line block ×6, first 2 shown]
	v_add_co_u32_e32 v0, vcc, 0x1000, v0
	v_addc_co_u32_e32 v1, vcc, 0, v1, vcc
	global_store_dwordx2 v[0:1], v[11:12], off offset:216
	global_store_dwordx2 v[0:1], v[9:10], off offset:832
	;; [unrolled: 1-line block ×4, first 2 shown]
.LBB0_22:
	s_endpgm
	.section	.rodata,"a",@progbits
	.p2align	6, 0x0
	.amdhsa_kernel fft_rtc_fwd_len847_factors_11_7_11_wgs_231_tpt_77_halfLds_sp_op_CI_CI_unitstride_sbrr_dirReg
		.amdhsa_group_segment_fixed_size 0
		.amdhsa_private_segment_fixed_size 0
		.amdhsa_kernarg_size 104
		.amdhsa_user_sgpr_count 6
		.amdhsa_user_sgpr_private_segment_buffer 1
		.amdhsa_user_sgpr_dispatch_ptr 0
		.amdhsa_user_sgpr_queue_ptr 0
		.amdhsa_user_sgpr_kernarg_segment_ptr 1
		.amdhsa_user_sgpr_dispatch_id 0
		.amdhsa_user_sgpr_flat_scratch_init 0
		.amdhsa_user_sgpr_private_segment_size 0
		.amdhsa_uses_dynamic_stack 0
		.amdhsa_system_sgpr_private_segment_wavefront_offset 0
		.amdhsa_system_sgpr_workgroup_id_x 1
		.amdhsa_system_sgpr_workgroup_id_y 0
		.amdhsa_system_sgpr_workgroup_id_z 0
		.amdhsa_system_sgpr_workgroup_info 0
		.amdhsa_system_vgpr_workitem_id 0
		.amdhsa_next_free_vgpr 97
		.amdhsa_next_free_sgpr 28
		.amdhsa_reserve_vcc 1
		.amdhsa_reserve_flat_scratch 0
		.amdhsa_float_round_mode_32 0
		.amdhsa_float_round_mode_16_64 0
		.amdhsa_float_denorm_mode_32 3
		.amdhsa_float_denorm_mode_16_64 3
		.amdhsa_dx10_clamp 1
		.amdhsa_ieee_mode 1
		.amdhsa_fp16_overflow 0
		.amdhsa_exception_fp_ieee_invalid_op 0
		.amdhsa_exception_fp_denorm_src 0
		.amdhsa_exception_fp_ieee_div_zero 0
		.amdhsa_exception_fp_ieee_overflow 0
		.amdhsa_exception_fp_ieee_underflow 0
		.amdhsa_exception_fp_ieee_inexact 0
		.amdhsa_exception_int_div_zero 0
	.end_amdhsa_kernel
	.text
.Lfunc_end0:
	.size	fft_rtc_fwd_len847_factors_11_7_11_wgs_231_tpt_77_halfLds_sp_op_CI_CI_unitstride_sbrr_dirReg, .Lfunc_end0-fft_rtc_fwd_len847_factors_11_7_11_wgs_231_tpt_77_halfLds_sp_op_CI_CI_unitstride_sbrr_dirReg
                                        ; -- End function
	.section	.AMDGPU.csdata,"",@progbits
; Kernel info:
; codeLenInByte = 8080
; NumSgprs: 32
; NumVgprs: 97
; ScratchSize: 0
; MemoryBound: 0
; FloatMode: 240
; IeeeMode: 1
; LDSByteSize: 0 bytes/workgroup (compile time only)
; SGPRBlocks: 3
; VGPRBlocks: 24
; NumSGPRsForWavesPerEU: 32
; NumVGPRsForWavesPerEU: 97
; Occupancy: 2
; WaveLimiterHint : 1
; COMPUTE_PGM_RSRC2:SCRATCH_EN: 0
; COMPUTE_PGM_RSRC2:USER_SGPR: 6
; COMPUTE_PGM_RSRC2:TRAP_HANDLER: 0
; COMPUTE_PGM_RSRC2:TGID_X_EN: 1
; COMPUTE_PGM_RSRC2:TGID_Y_EN: 0
; COMPUTE_PGM_RSRC2:TGID_Z_EN: 0
; COMPUTE_PGM_RSRC2:TIDIG_COMP_CNT: 0
	.type	__hip_cuid_513b3606d22a3bed,@object ; @__hip_cuid_513b3606d22a3bed
	.section	.bss,"aw",@nobits
	.globl	__hip_cuid_513b3606d22a3bed
__hip_cuid_513b3606d22a3bed:
	.byte	0                               ; 0x0
	.size	__hip_cuid_513b3606d22a3bed, 1

	.ident	"AMD clang version 19.0.0git (https://github.com/RadeonOpenCompute/llvm-project roc-6.4.0 25133 c7fe45cf4b819c5991fe208aaa96edf142730f1d)"
	.section	".note.GNU-stack","",@progbits
	.addrsig
	.addrsig_sym __hip_cuid_513b3606d22a3bed
	.amdgpu_metadata
---
amdhsa.kernels:
  - .args:
      - .actual_access:  read_only
        .address_space:  global
        .offset:         0
        .size:           8
        .value_kind:     global_buffer
      - .offset:         8
        .size:           8
        .value_kind:     by_value
      - .actual_access:  read_only
        .address_space:  global
        .offset:         16
        .size:           8
        .value_kind:     global_buffer
      - .actual_access:  read_only
        .address_space:  global
        .offset:         24
        .size:           8
        .value_kind:     global_buffer
      - .actual_access:  read_only
        .address_space:  global
        .offset:         32
        .size:           8
        .value_kind:     global_buffer
      - .offset:         40
        .size:           8
        .value_kind:     by_value
      - .actual_access:  read_only
        .address_space:  global
        .offset:         48
        .size:           8
        .value_kind:     global_buffer
      - .actual_access:  read_only
        .address_space:  global
        .offset:         56
        .size:           8
        .value_kind:     global_buffer
      - .offset:         64
        .size:           4
        .value_kind:     by_value
      - .actual_access:  read_only
        .address_space:  global
        .offset:         72
        .size:           8
        .value_kind:     global_buffer
      - .actual_access:  read_only
        .address_space:  global
        .offset:         80
        .size:           8
        .value_kind:     global_buffer
      - .actual_access:  read_only
        .address_space:  global
        .offset:         88
        .size:           8
        .value_kind:     global_buffer
      - .actual_access:  write_only
        .address_space:  global
        .offset:         96
        .size:           8
        .value_kind:     global_buffer
    .group_segment_fixed_size: 0
    .kernarg_segment_align: 8
    .kernarg_segment_size: 104
    .language:       OpenCL C
    .language_version:
      - 2
      - 0
    .max_flat_workgroup_size: 231
    .name:           fft_rtc_fwd_len847_factors_11_7_11_wgs_231_tpt_77_halfLds_sp_op_CI_CI_unitstride_sbrr_dirReg
    .private_segment_fixed_size: 0
    .sgpr_count:     32
    .sgpr_spill_count: 0
    .symbol:         fft_rtc_fwd_len847_factors_11_7_11_wgs_231_tpt_77_halfLds_sp_op_CI_CI_unitstride_sbrr_dirReg.kd
    .uniform_work_group_size: 1
    .uses_dynamic_stack: false
    .vgpr_count:     97
    .vgpr_spill_count: 0
    .wavefront_size: 64
amdhsa.target:   amdgcn-amd-amdhsa--gfx906
amdhsa.version:
  - 1
  - 2
...

	.end_amdgpu_metadata
